;; amdgpu-corpus repo=ROCm/rocFFT kind=compiled arch=gfx1030 opt=O3
	.text
	.amdgcn_target "amdgcn-amd-amdhsa--gfx1030"
	.amdhsa_code_object_version 6
	.protected	fft_rtc_fwd_len243_factors_3_3_3_3_3_wgs_216_tpt_27_sp_op_CI_CI_sbrc_erc_z_xy_aligned_dirReg ; -- Begin function fft_rtc_fwd_len243_factors_3_3_3_3_3_wgs_216_tpt_27_sp_op_CI_CI_sbrc_erc_z_xy_aligned_dirReg
	.globl	fft_rtc_fwd_len243_factors_3_3_3_3_3_wgs_216_tpt_27_sp_op_CI_CI_sbrc_erc_z_xy_aligned_dirReg
	.p2align	8
	.type	fft_rtc_fwd_len243_factors_3_3_3_3_3_wgs_216_tpt_27_sp_op_CI_CI_sbrc_erc_z_xy_aligned_dirReg,@function
fft_rtc_fwd_len243_factors_3_3_3_3_3_wgs_216_tpt_27_sp_op_CI_CI_sbrc_erc_z_xy_aligned_dirReg: ; @fft_rtc_fwd_len243_factors_3_3_3_3_3_wgs_216_tpt_27_sp_op_CI_CI_sbrc_erc_z_xy_aligned_dirReg
; %bb.0:
	s_load_dwordx8 s[8:15], s[4:5], 0x0
	v_mov_b32_e32 v1, 0x10e
	v_add_nc_u16 v4, v0, 0xd8
	v_mov_b32_e32 v23, 0x437
	v_mul_u32_u24_e32 v3, 0x10e, v0
	v_add_nc_u16 v6, v0, 0x1b0
	v_add_nc_u16 v7, v0, 0x288
	v_mul_u32_u24_sdwa v1, v4, v1 dst_sel:DWORD dst_unused:UNUSED_PAD src0_sel:WORD_0 src1_sel:DWORD
	v_add_nc_u16 v8, v0, 0x360
	v_lshrrev_b32_e32 v29, 16, v3
	v_mul_u32_u24_sdwa v3, v6, v23 dst_sel:DWORD dst_unused:UNUSED_PAD src0_sel:WORD_0 src1_sel:DWORD
	v_mul_u32_u24_sdwa v9, v7, v23 dst_sel:DWORD dst_unused:UNUSED_PAD src0_sel:WORD_0 src1_sel:DWORD
	v_lshrrev_b32_e32 v30, 16, v1
	v_add_nc_u16 v13, v0, 0x438
	v_mul_u32_u24_sdwa v10, v8, v23 dst_sel:DWORD dst_unused:UNUSED_PAD src0_sel:WORD_0 src1_sel:DWORD
	v_lshrrev_b32_e32 v31, 18, v3
	v_lshrrev_b32_e32 v32, 18, v9
	v_mul_lo_u16 v12, 0xf3, v29
	v_mul_u32_u24_sdwa v11, v13, v23 dst_sel:DWORD dst_unused:UNUSED_PAD src0_sel:WORD_0 src1_sel:DWORD
	v_lshrrev_b32_e32 v33, 18, v10
	s_waitcnt lgkmcnt(0)
	s_load_dwordx4 s[16:19], s[12:13], 0x8
	v_mul_lo_u16 v9, 0xf3, v30
	v_mul_lo_u16 v10, 0xf3, v32
	v_lshrrev_b32_e32 v34, 18, v11
	v_mul_lo_u16 v11, 0xf3, v33
	v_mov_b32_e32 v2, 0
	s_mov_b32 s7, 0
	v_add_nc_u16 v24, v0, 0x510
	v_mul_lo_u16 v14, 0xf3, v34
	v_mov_b32_e32 v47, 4
	v_sub_nc_u16 v21, v13, v14
	v_and_b32_e32 v40, 0xffff, v21
	s_waitcnt lgkmcnt(0)
	s_add_i32 s0, s16, -1
	s_lshr_b32 s24, s0, 3
	s_clause 0x1
	s_load_dwordx4 s[0:3], s[4:5], 0x58
	s_load_dwordx2 s[12:13], s[4:5], 0x20
	s_add_i32 s25, s24, 1
	s_load_dwordx4 s[20:23], s[14:15], 0x0
	s_mul_i32 s26, s25, s18
	v_cvt_f32_u32_e32 v3, s25
	v_cvt_f32_u32_e32 v5, s26
	s_sub_i32 s5, 0, s26
	s_waitcnt lgkmcnt(0)
	s_load_dword s23, s[14:15], 0x10
	v_rcp_iflag_f32_e32 v3, v3
	v_rcp_iflag_f32_e32 v5, v5
	v_mul_f32_e32 v3, 0x4f7ffffe, v3
	v_mul_f32_e32 v1, 0x4f7ffffe, v5
	v_sub_nc_u16 v5, v0, v12
	v_cvt_u32_f32_e32 v3, v3
	v_cvt_u32_f32_e32 v1, v1
	v_and_b32_e32 v35, 0xffff, v5
	v_sub_nc_u16 v5, v8, v11
	v_readfirstlane_b32 s27, v3
	v_readfirstlane_b32 s4, v1
	v_mul_lo_u16 v1, 0xf3, v31
	v_sub_nc_u16 v3, v4, v9
	v_sub_nc_u16 v4, v7, v10
	v_and_b32_e32 v39, 0xffff, v5
	s_mul_i32 s5, s5, s4
	v_sub_nc_u16 v1, v6, v1
	s_mul_hi_u32 s5, s4, s5
	v_and_b32_e32 v36, 0xffff, v3
	s_add_i32 s4, s4, s5
	v_and_b32_e32 v38, 0xffff, v4
	s_mul_hi_u32 s4, s6, s4
	v_and_b32_e32 v37, 0xffff, v1
	s_mul_i32 s5, s4, s26
	s_add_i32 s16, s4, 1
	s_sub_i32 s5, s6, s5
	v_mul_lo_u32 v1, s22, v29
	s_sub_i32 s17, s5, s26
	s_cmp_ge_u32 s5, s26
	v_mad_u64_u32 v[3:4], null, s20, v35, 0
	s_cselect_b32 s28, s16, s4
	s_cselect_b32 s4, s17, s5
	s_add_i32 s29, s28, 1
	s_cmp_ge_u32 s4, s26
	s_clause 0x1
	s_load_dwordx4 s[16:19], s[12:13], 0x0
	s_load_dwordx2 s[4:5], s[12:13], 0x10
	s_waitcnt lgkmcnt(0)
	s_cselect_b32 s5, s29, s28
	s_not_b32 s19, s24
	s_mul_i32 s24, s5, s26
	s_mul_i32 s19, s19, s27
	s_sub_i32 s24, s6, s24
	s_mul_hi_u32 s19, s27, s19
	v_mad_u64_u32 v[5:6], null, s20, v36, 0
	s_add_i32 s27, s27, s19
	v_mad_u64_u32 v[7:8], null, s20, v37, 0
	s_mul_hi_u32 s19, s24, s27
	s_mul_hi_u32 s27, s6, s27
	s_mul_i32 s26, s19, s25
	s_mul_i32 s27, s27, s25
	s_sub_i32 s24, s24, s26
	s_add_i32 s26, s19, 1
	s_sub_i32 s28, s24, s25
	s_cmp_ge_u32 s24, s25
	v_mad_u64_u32 v[9:10], null, s20, v38, 0
	s_cselect_b32 s19, s26, s19
	s_cselect_b32 s24, s28, s24
	s_add_i32 s26, s19, 1
	s_cmp_ge_u32 s24, s25
	v_mad_u64_u32 v[11:12], null, s20, v39, 0
	s_cselect_b32 s19, s26, s19
	s_sub_i32 s6, s6, s27
	s_mul_i32 s26, s19, s23
	s_sub_i32 s24, s6, s25
	s_cmp_ge_u32 s6, s25
	v_lshlrev_b64 v[13:14], 3, v[1:2]
	s_cselect_b32 s6, s24, s6
	v_mul_lo_u32 v1, s22, v30
	s_sub_i32 s24, s6, s25
	s_cmp_ge_u32 s6, s25
	v_mad_u64_u32 v[15:16], null, s21, v35, v[4:5]
	s_cselect_b32 s6, s24, s6
	s_lshl_b64 s[24:25], s[10:11], 3
	s_lshl_b32 s23, s6, 3
	v_mad_u64_u32 v[16:17], null, s21, v36, v[6:7]
	s_mul_i32 s6, s23, s22
	s_mul_i32 s10, s17, s23
	s_mul_hi_u32 s11, s16, s23
	s_add_i32 s6, s6, s26
	s_add_i32 s11, s11, s10
	s_add_u32 s14, s14, s24
	s_addc_u32 s15, s15, s25
	v_mad_u64_u32 v[17:18], null, s21, v37, v[8:9]
	s_load_dwordx2 s[14:15], s[14:15], 0x0
	v_mad_u64_u32 v[18:19], null, s21, v38, v[10:11]
	v_lshlrev_b64 v[19:20], 3, v[1:2]
	v_mul_lo_u32 v1, s22, v31
	v_mov_b32_e32 v4, v15
	v_mov_b32_e32 v6, v16
	;; [unrolled: 1-line block ×3, first 2 shown]
	v_mad_u64_u32 v[21:22], null, s21, v39, v[12:13]
	v_lshlrev_b64 v[3:4], 3, v[3:4]
	v_lshlrev_b64 v[5:6], 3, v[5:6]
	;; [unrolled: 1-line block ×3, first 2 shown]
	v_mul_lo_u32 v1, s22, v32
	v_mov_b32_e32 v10, v18
	v_lshlrev_b64 v[7:8], 3, v[7:8]
	v_mov_b32_e32 v12, v21
	v_lshlrev_b32_e32 v36, 3, v36
	v_lshlrev_b32_e32 v37, 3, v37
	v_lshlrev_b64 v[9:10], 3, v[9:10]
	s_waitcnt lgkmcnt(0)
	s_mul_i32 s10, s15, s5
	s_mul_hi_u32 s15, s14, s5
	s_mul_i32 s14, s14, s5
	s_add_i32 s15, s15, s10
	s_add_u32 s12, s12, s24
	s_addc_u32 s13, s13, s25
	s_lshl_b64 s[14:15], s[14:15], 3
	s_load_dwordx2 s[12:13], s[12:13], 0x0
	v_lshlrev_b64 v[17:18], 3, v[1:2]
	v_lshlrev_b32_e32 v38, 3, v38
	v_lshlrev_b32_e32 v39, 3, v39
	s_waitcnt lgkmcnt(0)
	s_mul_i32 s10, s13, s5
	s_mul_hi_u32 s13, s12, s5
	s_mul_i32 s12, s12, s5
	s_add_i32 s13, s13, s10
	s_add_u32 s10, s0, s14
	s_addc_u32 s14, s1, s15
	s_lshl_b64 s[0:1], s[6:7], 3
	s_mul_i32 s6, s4, 27
	s_add_u32 s0, s10, s0
	s_addc_u32 s1, s14, s1
	v_add_co_u32 v1, vcc_lo, s0, v3
	v_add_co_ci_u32_e32 v4, vcc_lo, s1, v4, vcc_lo
	v_add_co_u32 v5, vcc_lo, s0, v5
	v_add_co_ci_u32_e32 v6, vcc_lo, s1, v6, vcc_lo
	;; [unrolled: 2-line block ×7, first 2 shown]
	v_mul_u32_u24_sdwa v1, v24, v23 dst_sel:DWORD dst_unused:UNUSED_PAD src0_sel:WORD_0 src1_sel:DWORD
	v_add_co_u32 v9, vcc_lo, v9, v17
	v_mad_u64_u32 v[13:14], null, s20, v40, 0
	v_add_co_ci_u32_e32 v10, vcc_lo, v10, v18, vcc_lo
	s_clause 0x3
	global_load_dwordx2 v[15:16], v[3:4], off
	global_load_dwordx2 v[17:18], v[5:6], off
	;; [unrolled: 1-line block ×4, first 2 shown]
	v_lshrrev_b32_e32 v41, 18, v1
	v_add_nc_u16 v7, v0, 0x5e8
	v_add_nc_u16 v10, v0, 0x6c0
	v_mov_b32_e32 v5, v14
	v_mul_lo_u32 v1, s22, v33
	v_mul_lo_u16 v8, 0xf3, v41
	v_mul_u32_u24_sdwa v9, v7, v23 dst_sel:DWORD dst_unused:UNUSED_PAD src0_sel:WORD_0 src1_sel:DWORD
	v_lshlrev_b64 v[3:4], 3, v[11:12]
	v_mad_u64_u32 v[5:6], null, s21, v40, v[5:6]
	v_sub_nc_u16 v6, v24, v8
	v_lshrrev_b32_e32 v42, 18, v9
	v_mul_u32_u24_sdwa v8, v10, v23 dst_sel:DWORD dst_unused:UNUSED_PAD src0_sel:WORD_0 src1_sel:DWORD
	v_add_co_u32 v9, vcc_lo, s0, v3
	v_add_co_ci_u32_e32 v11, vcc_lo, s1, v4, vcc_lo
	v_lshlrev_b64 v[3:4], 3, v[1:2]
	v_mul_lo_u16 v1, 0xf3, v42
	v_lshrrev_b32_e32 v44, 18, v8
	v_and_b32_e32 v43, 0xffff, v6
	v_mov_b32_e32 v14, v5
	v_lshlrev_b32_e32 v40, 3, v40
	v_sub_nc_u16 v7, v7, v1
	v_mul_lo_u16 v1, 0xf3, v44
	v_add_co_u32 v3, vcc_lo, v9, v3
	v_mad_u64_u32 v[5:6], null, s20, v43, 0
	v_sub_nc_u16 v9, v10, v1
	v_and_b32_e32 v45, 0xffff, v7
	v_lshlrev_b64 v[7:8], 3, v[13:14]
	v_mul_lo_u32 v1, s22, v34
	v_add_co_ci_u32_e32 v4, vcc_lo, v11, v4, vcc_lo
	v_and_b32_e32 v46, 0xffff, v9
	v_mad_u64_u32 v[9:10], null, s20, v45, 0
	v_mad_u64_u32 v[11:12], null, s21, v43, v[6:7]
	;; [unrolled: 1-line block ×3, first 2 shown]
	v_add_co_u32 v14, vcc_lo, s0, v7
	v_mov_b32_e32 v7, v10
	v_lshlrev_b64 v[23:24], 3, v[1:2]
	v_mul_lo_u32 v1, s22, v41
	v_add_co_ci_u32_e32 v25, vcc_lo, s1, v8, vcc_lo
	v_mov_b32_e32 v6, v11
	v_mad_u64_u32 v[7:8], null, s21, v45, v[7:8]
	v_mov_b32_e32 v8, v13
	v_add_co_u32 v23, vcc_lo, v14, v23
	v_lshlrev_b64 v[5:6], 3, v[5:6]
	v_add_co_ci_u32_e32 v24, vcc_lo, v25, v24, vcc_lo
	v_lshlrev_b64 v[25:26], 3, v[1:2]
	v_mul_lo_u32 v1, s22, v42
	v_mad_u64_u32 v[13:14], null, s21, v46, v[8:9]
	v_mov_b32_e32 v10, v7
	v_add_co_u32 v7, vcc_lo, s0, v5
	v_add_co_ci_u32_e32 v8, vcc_lo, s1, v6, vcc_lo
	v_lshlrev_b64 v[5:6], 3, v[9:10]
	v_lshlrev_b64 v[9:10], 3, v[1:2]
	v_mul_lo_u32 v1, s22, v44
	v_add_co_u32 v7, vcc_lo, v7, v25
	v_lshlrev_b64 v[11:12], 3, v[12:13]
	v_add_co_ci_u32_e32 v8, vcc_lo, v8, v26, vcc_lo
	v_add_co_u32 v13, vcc_lo, s0, v5
	v_add_co_ci_u32_e32 v14, vcc_lo, s1, v6, vcc_lo
	v_add_co_u32 v11, vcc_lo, s0, v11
	v_lshlrev_b64 v[5:6], 3, v[1:2]
	v_add_co_ci_u32_e32 v12, vcc_lo, s1, v12, vcc_lo
	v_add_co_u32 v9, vcc_lo, v13, v9
	v_add_co_ci_u32_e32 v10, vcc_lo, v14, v10, vcc_lo
	v_add_co_u32 v5, vcc_lo, v11, v5
	v_add_co_ci_u32_e32 v6, vcc_lo, v12, v6, vcc_lo
	s_clause 0x4
	global_load_dwordx2 v[11:12], v[3:4], off
	global_load_dwordx2 v[13:14], v[23:24], off
	global_load_dwordx2 v[23:24], v[7:8], off
	global_load_dwordx2 v[25:26], v[9:10], off
	global_load_dwordx2 v[27:28], v[5:6], off
	v_mul_u32_u24_e32 v1, 0x97c, v0
	v_mov_b32_e32 v8, 3
	v_mov_b32_e32 v4, 27
	v_mul_u32_u24_e32 v10, 0x7a0, v29
	v_mul_u32_u24_e32 v29, 0x7a0, v30
	v_lshrrev_b32_e32 v1, 16, v1
	v_mul_u32_u24_e32 v30, 0x7a0, v31
	v_mul_u32_u24_e32 v31, 0x7a0, v32
	;; [unrolled: 1-line block ×4, first 2 shown]
	v_and_b32_e32 v3, 7, v1
	v_mul_lo_u16 v1, v1, 27
	v_mul_u32_u24_e32 v41, 0x7a0, v41
	v_mul_u32_u24_e32 v42, 0x7a0, v42
	;; [unrolled: 1-line block ×3, first 2 shown]
	v_mul_lo_u16 v3, 0xf4, v3
	v_sub_nc_u16 v34, v0, v1
	v_lshlrev_b32_e32 v43, 3, v43
	v_lshlrev_b32_e32 v45, 3, v45
	;; [unrolled: 1-line block ×3, first 2 shown]
	v_lshlrev_b32_sdwa v9, v8, v3 dst_sel:DWORD dst_unused:UNUSED_PAD src0_sel:DWORD src1_sel:WORD_0
	v_lshlrev_b32_sdwa v48, v8, v34 dst_sel:DWORD dst_unused:UNUSED_PAD src0_sel:DWORD src1_sel:WORD_0
	v_add_nc_u32_sdwa v5, v34, v4 dst_sel:DWORD dst_unused:UNUSED_PAD src0_sel:WORD_0 src1_sel:DWORD
	v_lshlrev_b32_e32 v4, 3, v35
	v_add3_u32 v29, 0, v29, v36
	v_add_nc_u32_e32 v7, 0, v9
	v_add3_u32 v3, 0, v48, v9
	v_add3_u32 v30, 0, v30, v37
	;; [unrolled: 1-line block ×4, first 2 shown]
	v_add_nc_u32_e32 v4, v7, v48
	v_add3_u32 v32, 0, v32, v39
	v_add3_u32 v33, 0, v33, v40
	;; [unrolled: 1-line block ×5, first 2 shown]
	v_mov_b32_e32 v6, 54
	v_and_b32_e32 v49, 0xff, v34
	v_and_b32_e32 v35, 0xff, v5
	s_mul_i32 s10, s16, s23
	s_mov_b32 s1, s7
	v_add_nc_u32_sdwa v1, v34, v6 dst_sel:DWORD dst_unused:UNUSED_PAD src0_sel:WORD_0 src1_sel:DWORD
	v_mul_lo_u16 v6, 0xab, v49
	s_mul_i32 s0, s19, s18
	v_cmp_gt_u32_e32 vcc_lo, 8, v0
	s_waitcnt vmcnt(8)
	ds_write_b64 v10, v[15:16]
	s_waitcnt vmcnt(7)
	ds_write_b64 v29, v[17:18]
	;; [unrolled: 2-line block ×9, first 2 shown]
	s_waitcnt lgkmcnt(0)
	s_barrier
	buffer_gl0_inv
	ds_read_b64 v[26:27], v4
	ds_read2_b64 v[10:13], v3 offset0:81 offset1:108
	ds_read2_b64 v[14:17], v3 offset0:135 offset1:162
	;; [unrolled: 1-line block ×4, first 2 shown]
	v_and_b32_e32 v50, 0xff, v1
	v_lshrrev_b16 v48, 9, v6
	v_mul_lo_u16 v6, 0xab, v35
	s_waitcnt lgkmcnt(0)
	s_barrier
	v_mul_lo_u16 v28, 0xab, v50
	v_mul_lo_u16 v29, v48, 3
	v_lshrrev_b16 v39, 9, v6
	v_lshlrev_b32_sdwa v6, v47, v34 dst_sel:DWORD dst_unused:UNUSED_PAD src0_sel:DWORD src1_sel:WORD_0
	buffer_gl0_inv
	v_lshrrev_b16 v28, 9, v28
	v_sub_nc_u16 v29, v34, v29
	v_mul_lo_u16 v30, v39, 3
	v_add_nc_u32_e32 v31, v3, v6
	v_mul_lo_u16 v33, v28, 3
	v_lshlrev_b32_sdwa v36, v47, v29 dst_sel:DWORD dst_unused:UNUSED_PAD src0_sel:DWORD src1_sel:BYTE_0
	v_add_f32_e32 v38, v26, v10
	v_add_f32_e32 v40, v10, v16
	;; [unrolled: 1-line block ×10, first 2 shown]
	v_sub_f32_e32 v41, v11, v17
	v_sub_f32_e32 v44, v10, v16
	v_fma_f32 v26, -0.5, v40, v26
	v_fmac_f32_e32 v27, -0.5, v43
	v_add_f32_e32 v45, v18, v12
	v_sub_f32_e32 v51, v13, v23
	v_add_f32_e32 v52, v19, v13
	v_sub_f32_e32 v54, v12, v22
	v_sub_f32_e32 v57, v15, v25
	;; [unrolled: 1-line block ×3, first 2 shown]
	v_fma_f32 v14, -0.5, v46, v18
	v_fma_f32 v15, -0.5, v53, v19
	;; [unrolled: 1-line block ×3, first 2 shown]
	v_fmac_f32_e32 v21, -0.5, v59
	v_sub_nc_u16 v30, v5, v30
	v_add_f32_e32 v10, v38, v16
	v_add_f32_e32 v11, v42, v17
	;; [unrolled: 1-line block ×4, first 2 shown]
	v_fmamk_f32 v18, v41, 0x3f5db3d7, v26
	v_fmamk_f32 v19, v44, 0xbf5db3d7, v27
	v_add_f32_e32 v12, v45, v22
	v_add_f32_e32 v13, v52, v23
	v_fmamk_f32 v22, v51, 0x3f5db3d7, v14
	v_fmamk_f32 v23, v54, 0xbf5db3d7, v15
	v_fmac_f32_e32 v26, 0xbf5db3d7, v41
	v_fmac_f32_e32 v27, 0x3f5db3d7, v44
	v_fmac_f32_e32 v14, 0xbf5db3d7, v51
	v_fmac_f32_e32 v15, 0x3f5db3d7, v54
	v_add_nc_u32_e32 v32, 0x400, v31
	v_fmamk_f32 v24, v57, 0x3f5db3d7, v20
	v_fmamk_f32 v25, v60, 0xbf5db3d7, v21
	v_lshlrev_b32_sdwa v37, v47, v30 dst_sel:DWORD dst_unused:UNUSED_PAD src0_sel:DWORD src1_sel:BYTE_0
	v_fmac_f32_e32 v20, 0xbf5db3d7, v57
	v_fmac_f32_e32 v21, 0x3f5db3d7, v60
	ds_write_b64 v31, v[16:17] offset:1296
	ds_write2_b64 v31, v[10:11], v[18:19] offset1:1
	ds_write2_b64 v31, v[12:13], v[22:23] offset0:81 offset1:82
	ds_write2_b64 v31, v[26:27], v[14:15] offset0:2 offset1:83
	ds_write2_b32 v32, v24, v25 offset0:70 offset1:71
	ds_write2_b32 v32, v20, v21 offset0:72 offset1:73
	v_sub_nc_u16 v31, v1, v33
	s_waitcnt lgkmcnt(0)
	s_barrier
	buffer_gl0_inv
	s_clause 0x1
	global_load_dwordx4 v[10:13], v36, s[8:9]
	global_load_dwordx4 v[14:17], v37, s[8:9]
	v_lshlrev_b32_sdwa v18, v47, v31 dst_sel:DWORD dst_unused:UNUSED_PAD src0_sel:DWORD src1_sel:BYTE_0
	v_mul_lo_u16 v22, v49, 57
	v_mul_lo_u16 v23, v50, 57
	v_and_b32_e32 v24, 0xffff, v48
	v_and_b32_e32 v32, 0xffff, v39
	global_load_dwordx4 v[18:21], v18, s[8:9]
	v_lshrrev_b16 v40, 9, v22
	v_mul_lo_u16 v22, v35, 57
	v_lshrrev_b16 v42, 9, v23
	v_mad_u32_u24 v35, 0x48, v24, 0
	v_and_b32_e32 v33, 0xffff, v28
	v_mul_lo_u16 v25, v40, 9
	v_lshrrev_b16 v41, 9, v22
	v_mul_lo_u16 v36, v42, 9
	v_lshlrev_b32_sdwa v37, v8, v29 dst_sel:DWORD dst_unused:UNUSED_PAD src0_sel:DWORD src1_sel:BYTE_0
	ds_read2_b64 v[26:29], v3 offset0:135 offset1:162
	v_sub_nc_u16 v43, v34, v25
	v_mul_lo_u16 v34, v41, 9
	ds_read2_b64 v[22:25], v3 offset0:81 offset1:108
	v_mad_u32_u24 v38, 0x48, v32, 0
	v_mad_u32_u24 v39, 0x48, v33, 0
	v_sub_nc_u16 v46, v1, v36
	v_sub_nc_u16 v45, v5, v34
	v_lshlrev_b32_sdwa v34, v8, v30 dst_sel:DWORD dst_unused:UNUSED_PAD src0_sel:DWORD src1_sel:BYTE_0
	v_lshlrev_b32_sdwa v36, v8, v31 dst_sel:DWORD dst_unused:UNUSED_PAD src0_sel:DWORD src1_sel:BYTE_0
	ds_read2_b64 v[30:33], v3 offset0:189 offset1:216
	v_add3_u32 v48, v35, v37, v9
	v_lshlrev_b32_sdwa v44, v47, v43 dst_sel:DWORD dst_unused:UNUSED_PAD src0_sel:DWORD src1_sel:BYTE_0
	v_add3_u32 v51, v38, v34, v9
	v_add3_u32 v52, v39, v36, v9
	ds_read_b64 v[38:39], v4
	ds_read2_b64 v[34:37], v3 offset0:27 offset1:54
	v_lshlrev_b32_sdwa v49, v47, v45 dst_sel:DWORD dst_unused:UNUSED_PAD src0_sel:DWORD src1_sel:BYTE_0
	s_waitcnt vmcnt(0) lgkmcnt(0)
	s_barrier
	buffer_gl0_inv
	v_lshlrev_b32_e32 v5, 4, v5
	v_mul_f32_e32 v53, v11, v23
	v_mul_f32_e32 v11, v11, v22
	;; [unrolled: 1-line block ×6, first 2 shown]
	v_fma_f32 v22, v10, v22, -v53
	v_fmac_f32_e32 v11, v10, v23
	v_fma_f32 v10, v12, v28, -v54
	v_fmac_f32_e32 v13, v12, v29
	v_mul_f32_e32 v12, v17, v31
	v_mul_f32_e32 v17, v17, v30
	;; [unrolled: 1-line block ×4, first 2 shown]
	v_fma_f32 v24, v14, v24, -v55
	v_fmac_f32_e32 v15, v14, v25
	v_mul_f32_e32 v14, v33, v21
	v_mul_f32_e32 v21, v32, v21
	v_fma_f32 v12, v16, v30, -v12
	v_fmac_f32_e32 v17, v16, v31
	v_fma_f32 v16, v18, v26, -v23
	v_fmac_f32_e32 v19, v18, v27
	;; [unrolled: 2-line block ×3, first 2 shown]
	v_add_f32_e32 v20, v22, v10
	v_add_f32_e32 v26, v11, v13
	;; [unrolled: 1-line block ×4, first 2 shown]
	v_sub_f32_e32 v29, v15, v17
	v_add_f32_e32 v30, v35, v15
	v_add_f32_e32 v15, v15, v17
	;; [unrolled: 1-line block ×3, first 2 shown]
	v_sub_f32_e32 v33, v19, v21
	v_add_f32_e32 v53, v37, v19
	v_add_f32_e32 v19, v19, v21
	v_sub_f32_e32 v23, v11, v13
	v_add_f32_e32 v25, v39, v11
	v_sub_f32_e32 v22, v22, v10
	v_add_f32_e32 v31, v36, v16
	v_fma_f32 v38, -0.5, v20, v38
	v_fmac_f32_e32 v39, -0.5, v26
	v_add_f32_e32 v27, v34, v24
	v_sub_f32_e32 v24, v24, v12
	v_add_f32_e32 v10, v14, v10
	v_fma_f32 v14, -0.5, v28, v34
	v_fma_f32 v15, -0.5, v15, v35
	v_sub_f32_e32 v54, v16, v18
	v_fma_f32 v36, -0.5, v32, v36
	v_fmac_f32_e32 v37, -0.5, v19
	v_add_f32_e32 v11, v25, v13
	v_add_f32_e32 v16, v31, v18
	v_fmamk_f32 v18, v23, 0x3f5db3d7, v38
	v_fmamk_f32 v19, v22, 0xbf5db3d7, v39
	v_fmac_f32_e32 v38, 0xbf5db3d7, v23
	v_fmac_f32_e32 v39, 0x3f5db3d7, v22
	v_add_f32_e32 v12, v27, v12
	v_add_f32_e32 v13, v30, v17
	;; [unrolled: 1-line block ×3, first 2 shown]
	v_fmamk_f32 v20, v29, 0x3f5db3d7, v14
	v_fmamk_f32 v21, v24, 0xbf5db3d7, v15
	v_fmac_f32_e32 v14, 0xbf5db3d7, v29
	v_fmac_f32_e32 v15, 0x3f5db3d7, v24
	v_fmamk_f32 v22, v33, 0x3f5db3d7, v36
	v_fmamk_f32 v23, v54, 0xbf5db3d7, v37
	v_fmac_f32_e32 v36, 0xbf5db3d7, v33
	v_fmac_f32_e32 v37, 0x3f5db3d7, v54
	ds_write2_b64 v48, v[10:11], v[18:19] offset1:3
	ds_write_b64 v48, v[38:39] offset:48
	ds_write2_b64 v51, v[12:13], v[20:21] offset1:3
	ds_write_b64 v51, v[14:15] offset:48
	;; [unrolled: 2-line block ×3, first 2 shown]
	v_lshlrev_b32_sdwa v18, v47, v46 dst_sel:DWORD dst_unused:UNUSED_PAD src0_sel:DWORD src1_sel:BYTE_0
	s_waitcnt lgkmcnt(0)
	s_barrier
	buffer_gl0_inv
	s_clause 0x2
	global_load_dwordx4 v[10:13], v44, s[8:9] offset:48
	global_load_dwordx4 v[14:17], v49, s[8:9] offset:48
	;; [unrolled: 1-line block ×3, first 2 shown]
	v_mul_lo_u16 v22, v50, 19
	v_and_b32_e32 v23, 0xffff, v40
	v_and_b32_e32 v30, 0xffff, v41
	v_and_b32_e32 v31, 0xffff, v42
	v_lshlrev_b32_sdwa v36, v8, v43 dst_sel:DWORD dst_unused:UNUSED_PAD src0_sel:DWORD src1_sel:BYTE_0
	v_lshrrev_b16 v26, 9, v22
	v_mad_u32_u24 v34, 0xd8, v23, 0
	ds_read2_b64 v[22:25], v3 offset0:81 offset1:108
	v_mad_u32_u24 v37, 0xd8, v30, 0
	v_mad_u32_u24 v38, 0xd8, v31, 0
	v_mul_lo_u16 v35, v26, 27
	ds_read2_b64 v[26:29], v3 offset0:135 offset1:162
	ds_read2_b64 v[30:33], v3 offset0:189 offset1:216
	v_lshlrev_b32_sdwa v39, v8, v45 dst_sel:DWORD dst_unused:UNUSED_PAD src0_sel:DWORD src1_sel:BYTE_0
	v_lshlrev_b32_sdwa v8, v8, v46 dst_sel:DWORD dst_unused:UNUSED_PAD src0_sel:DWORD src1_sel:BYTE_0
	v_sub_nc_u16 v35, v1, v35
	v_add3_u32 v40, v34, v36, v9
	v_lshlrev_b32_e32 v1, 4, v1
	v_add3_u32 v39, v37, v39, v9
	v_add3_u32 v38, v38, v8, v9
	v_and_b32_e32 v41, 0xff, v35
	ds_read_b64 v[8:9], v4
	ds_read2_b64 v[34:37], v3 offset0:27 offset1:54
	s_waitcnt vmcnt(0) lgkmcnt(0)
	s_barrier
	buffer_gl0_inv
	v_add_nc_u32_e32 v54, 0x400, v3
	v_mul_f32_e32 v42, v11, v23
	v_mul_f32_e32 v11, v11, v22
	;; [unrolled: 1-line block ×12, first 2 shown]
	v_fma_f32 v22, v10, v22, -v42
	v_fmac_f32_e32 v11, v10, v23
	v_fma_f32 v10, v12, v28, -v43
	v_fmac_f32_e32 v13, v12, v29
	;; [unrolled: 2-line block ×6, first 2 shown]
	v_add_f32_e32 v23, v22, v10
	v_add_f32_e32 v26, v11, v13
	;; [unrolled: 1-line block ×4, first 2 shown]
	v_sub_f32_e32 v29, v15, v17
	v_add_f32_e32 v30, v35, v15
	v_add_f32_e32 v15, v15, v17
	;; [unrolled: 1-line block ×3, first 2 shown]
	v_sub_f32_e32 v42, v19, v21
	v_add_f32_e32 v43, v37, v19
	v_add_f32_e32 v19, v19, v21
	;; [unrolled: 1-line block ×3, first 2 shown]
	v_sub_f32_e32 v24, v11, v13
	v_add_f32_e32 v25, v9, v11
	v_sub_f32_e32 v22, v22, v10
	v_add_f32_e32 v32, v36, v16
	v_fma_f32 v8, -0.5, v23, v8
	v_fmac_f32_e32 v9, -0.5, v26
	v_sub_f32_e32 v31, v12, v14
	v_add_f32_e32 v12, v27, v14
	v_fma_f32 v14, -0.5, v28, v34
	v_fma_f32 v15, -0.5, v15, v35
	v_sub_f32_e32 v44, v16, v18
	v_fma_f32 v36, -0.5, v33, v36
	v_fmac_f32_e32 v37, -0.5, v19
	v_add_f32_e32 v10, v20, v10
	v_add_f32_e32 v11, v25, v13
	;; [unrolled: 1-line block ×3, first 2 shown]
	v_fmamk_f32 v18, v24, 0x3f5db3d7, v8
	v_fmamk_f32 v19, v22, 0xbf5db3d7, v9
	v_fmac_f32_e32 v8, 0xbf5db3d7, v24
	v_fmac_f32_e32 v9, 0x3f5db3d7, v22
	v_add_f32_e32 v13, v30, v17
	v_add_f32_e32 v17, v43, v21
	v_fmamk_f32 v20, v29, 0x3f5db3d7, v14
	v_fmamk_f32 v21, v31, 0xbf5db3d7, v15
	v_fmac_f32_e32 v14, 0xbf5db3d7, v29
	v_fmac_f32_e32 v15, 0x3f5db3d7, v31
	v_fmamk_f32 v22, v42, 0x3f5db3d7, v36
	v_fmamk_f32 v23, v44, 0xbf5db3d7, v37
	v_fmac_f32_e32 v36, 0xbf5db3d7, v42
	v_fmac_f32_e32 v37, 0x3f5db3d7, v44
	ds_write2_b64 v40, v[10:11], v[18:19] offset1:9
	ds_write_b64 v40, v[8:9] offset:144
	ds_write2_b64 v39, v[12:13], v[20:21] offset1:9
	ds_write_b64 v39, v[14:15] offset:144
	;; [unrolled: 2-line block ×3, first 2 shown]
	v_lshlrev_b32_e32 v12, 4, v41
	s_waitcnt lgkmcnt(0)
	s_barrier
	buffer_gl0_inv
	s_clause 0x1
	global_load_dwordx4 v[8:11], v6, s[8:9] offset:192
	global_load_dwordx4 v[12:15], v12, s[8:9] offset:192
	ds_read2_b64 v[16:19], v3 offset0:81 offset1:108
	ds_read2_b64 v[20:23], v3 offset0:135 offset1:162
	;; [unrolled: 1-line block ×3, first 2 shown]
	ds_read_b64 v[32:33], v4
	ds_read2_b64 v[28:31], v3 offset0:27 offset1:54
	v_lshl_add_u32 v34, v41, 3, v7
	s_waitcnt vmcnt(0) lgkmcnt(0)
	s_barrier
	buffer_gl0_inv
	v_mul_f32_e32 v7, v9, v17
	v_mul_f32_e32 v35, v9, v16
	;; [unrolled: 1-line block ×12, first 2 shown]
	v_fma_f32 v7, v8, v16, -v7
	v_fmac_f32_e32 v35, v8, v17
	v_fma_f32 v16, v10, v22, -v36
	v_fmac_f32_e32 v37, v10, v23
	;; [unrolled: 2-line block ×6, first 2 shown]
	v_add_f32_e32 v11, v7, v16
	v_add_f32_e32 v14, v35, v37
	;; [unrolled: 1-line block ×5, first 2 shown]
	v_sub_f32_e32 v20, v35, v37
	v_add_f32_e32 v35, v8, v19
	v_add_f32_e32 v39, v13, v15
	;; [unrolled: 1-line block ×3, first 2 shown]
	v_sub_f32_e32 v21, v7, v16
	v_add_f32_e32 v38, v31, v13
	v_fma_f32 v32, -0.5, v11, v32
	v_fmac_f32_e32 v33, -0.5, v14
	v_add_f32_e32 v22, v28, v17
	v_add_f32_e32 v25, v29, v9
	v_sub_f32_e32 v24, v9, v40
	v_sub_f32_e32 v27, v17, v18
	v_add_f32_e32 v17, v30, v8
	v_sub_f32_e32 v41, v8, v19
	v_add_f32_e32 v8, v12, v37
	v_fma_f32 v11, -0.5, v23, v28
	v_fma_f32 v12, -0.5, v26, v29
	v_sub_f32_e32 v36, v13, v15
	v_fma_f32 v30, -0.5, v35, v30
	v_fmac_f32_e32 v31, -0.5, v39
	v_add_f32_e32 v7, v10, v16
	v_add_f32_e32 v14, v38, v15
	v_fmamk_f32 v15, v20, 0x3f5db3d7, v32
	v_fmamk_f32 v16, v21, 0xbf5db3d7, v33
	v_add_f32_e32 v9, v22, v18
	v_add_f32_e32 v10, v25, v40
	v_fmac_f32_e32 v32, 0xbf5db3d7, v20
	v_fmac_f32_e32 v33, 0x3f5db3d7, v21
	v_add_f32_e32 v13, v17, v19
	v_fmamk_f32 v17, v24, 0x3f5db3d7, v11
	v_fmac_f32_e32 v11, 0xbf5db3d7, v24
	v_fmamk_f32 v18, v27, 0xbf5db3d7, v12
	v_fmac_f32_e32 v12, 0x3f5db3d7, v27
	v_fmamk_f32 v19, v36, 0x3f5db3d7, v30
	v_fmamk_f32 v20, v41, 0xbf5db3d7, v31
	v_fmac_f32_e32 v30, 0xbf5db3d7, v36
	v_fmac_f32_e32 v31, 0x3f5db3d7, v41
	ds_write2_b64 v3, v[7:8], v[15:16] offset1:27
	ds_write2_b64 v3, v[32:33], v[9:10] offset0:54 offset1:81
	ds_write2_b64 v3, v[17:18], v[11:12] offset0:108 offset1:135
	;; [unrolled: 1-line block ×3, first 2 shown]
	ds_write_b64 v34, v[30:31] offset:1728
	s_waitcnt lgkmcnt(0)
	s_barrier
	buffer_gl0_inv
	s_clause 0x2
	global_load_dwordx4 v[7:10], v6, s[8:9] offset:624
	global_load_dwordx4 v[11:14], v5, s[8:9] offset:624
	;; [unrolled: 1-line block ×3, first 2 shown]
	v_and_b32_e32 v6, 7, v0
	v_lshrrev_b32_e32 v1, 3, v0
	s_lshl_b64 s[8:9], s[10:11], 3
	s_add_u32 s2, s2, s8
	v_mad_u64_u32 v[23:24], null, s16, v6, 0
	v_mul_lo_u32 v1, v1, s4
	s_addc_u32 s3, s3, s9
	s_lshl_b64 s[0:1], s[0:1], 3
	s_add_u32 s2, s2, s0
	s_addc_u32 s3, s3, s1
	v_mov_b32_e32 v5, v24
	s_lshl_b64 s[0:1], s[12:13], 3
	v_lshlrev_b64 v[19:20], 3, v[1:2]
	v_add_nc_u32_e32 v1, s6, v1
	s_add_u32 s0, s2, s0
	v_mad_u64_u32 v[24:25], null, s17, v6, v[5:6]
	v_and_b32_e32 v25, 0xf8, v0
	v_lshlrev_b64 v[21:22], 3, v[1:2]
	v_add_nc_u32_e32 v1, s6, v1
	s_addc_u32 s1, s3, s1
	v_mad_u32_u24 v5, 0x7a0, v6, 0
	v_lshlrev_b64 v[23:24], 3, v[23:24]
	v_lshlrev_b64 v[27:28], 3, v[1:2]
	v_add_nc_u32_e32 v1, s6, v1
	v_add_nc_u32_e32 v53, v5, v25
	v_add_co_u32 v0, s0, s0, v23
	v_lshlrev_b64 v[29:30], 3, v[1:2]
	v_add_nc_u32_e32 v1, s6, v1
	v_add_co_ci_u32_e64 v6, s0, s1, v24, s0
	v_add_co_u32 v43, s0, v0, v19
	v_lshlrev_b64 v[31:32], 3, v[1:2]
	v_add_nc_u32_e32 v1, s6, v1
	v_add_co_ci_u32_e64 v44, s0, v6, v20, s0
	v_add_co_u32 v45, s0, v0, v21
	v_add_co_ci_u32_e64 v46, s0, v6, v22, s0
	v_lshlrev_b64 v[35:36], 3, v[1:2]
	v_add_nc_u32_e32 v1, s6, v1
	ds_read2_b64 v[19:22], v3 offset0:81 offset1:108
	ds_read2_b64 v[23:26], v3 offset0:135 offset1:162
	v_add_co_u32 v47, s0, v0, v27
	v_add_co_ci_u32_e64 v48, s0, v6, v28, s0
	v_add_co_u32 v49, s0, v0, v29
	v_lshlrev_b64 v[37:38], 3, v[1:2]
	v_add_nc_u32_e32 v1, s6, v1
	v_add_co_ci_u32_e64 v50, s0, v6, v30, s0
	ds_read2_b64 v[27:30], v3 offset0:189 offset1:216
	v_add_co_u32 v51, s0, v0, v31
	v_lshlrev_b64 v[39:40], 3, v[1:2]
	v_add_nc_u32_e32 v1, s6, v1
	v_add_co_ci_u32_e64 v52, s0, v6, v32, s0
	v_lshlrev_b64 v[41:42], 3, v[1:2]
	ds_read_b64 v[1:2], v4
	ds_read2_b64 v[31:34], v3 offset0:27 offset1:54
	s_waitcnt vmcnt(0) lgkmcnt(0)
	s_barrier
	buffer_gl0_inv
	v_mul_f32_e32 v4, v8, v20
	v_mul_f32_e32 v8, v8, v19
	;; [unrolled: 1-line block ×6, first 2 shown]
	v_fma_f32 v4, v7, v19, -v4
	v_fmac_f32_e32 v8, v7, v20
	v_fma_f32 v7, v9, v25, -v55
	v_fmac_f32_e32 v10, v9, v26
	v_mul_f32_e32 v9, v14, v28
	v_mul_f32_e32 v14, v14, v27
	;; [unrolled: 1-line block ×3, first 2 shown]
	v_fma_f32 v20, v11, v21, -v56
	v_fmac_f32_e32 v12, v11, v22
	v_mul_f32_e32 v11, v30, v18
	v_mul_f32_e32 v16, v16, v23
	;; [unrolled: 1-line block ×3, first 2 shown]
	v_fma_f32 v9, v13, v27, -v9
	v_fmac_f32_e32 v14, v13, v28
	v_fma_f32 v13, v15, v23, -v19
	v_fma_f32 v11, v29, v17, -v11
	v_fmac_f32_e32 v16, v15, v24
	v_fmac_f32_e32 v18, v30, v17
	v_add_f32_e32 v17, v4, v7
	v_add_f32_e32 v22, v8, v10
	;; [unrolled: 1-line block ×4, first 2 shown]
	v_sub_f32_e32 v25, v12, v14
	v_add_f32_e32 v26, v32, v12
	v_add_f32_e32 v12, v12, v14
	;; [unrolled: 1-line block ×5, first 2 shown]
	v_sub_f32_e32 v29, v16, v18
	v_add_f32_e32 v30, v34, v16
	v_add_f32_e32 v16, v16, v18
	v_sub_f32_e32 v19, v8, v10
	v_sub_f32_e32 v4, v4, v7
	v_fma_f32 v1, -0.5, v17, v1
	v_fmac_f32_e32 v2, -0.5, v22
	v_sub_f32_e32 v20, v20, v9
	v_add_f32_e32 v7, v15, v7
	v_fma_f32 v15, -0.5, v24, v31
	v_fma_f32 v17, -0.5, v12, v32
	v_add_f32_e32 v27, v33, v13
	v_add_f32_e32 v8, v21, v10
	v_fma_f32 v21, -0.5, v28, v33
	v_sub_f32_e32 v55, v13, v11
	v_add_f32_e32 v9, v23, v9
	v_add_f32_e32 v10, v26, v14
	v_fmac_f32_e32 v34, -0.5, v16
	v_fmamk_f32 v13, v19, 0x3f5db3d7, v1
	v_fmac_f32_e32 v1, 0xbf5db3d7, v19
	v_fmamk_f32 v14, v4, 0xbf5db3d7, v2
	v_fmac_f32_e32 v2, 0x3f5db3d7, v4
	v_fmamk_f32 v4, v25, 0x3f5db3d7, v15
	v_fmamk_f32 v16, v20, 0xbf5db3d7, v17
	v_fmac_f32_e32 v15, 0xbf5db3d7, v25
	v_fmac_f32_e32 v17, 0x3f5db3d7, v20
	v_add_f32_e32 v11, v27, v11
	v_add_f32_e32 v12, v30, v18
	v_fmamk_f32 v18, v29, 0x3f5db3d7, v21
	v_fmac_f32_e32 v21, 0xbf5db3d7, v29
	v_fmamk_f32 v19, v55, 0xbf5db3d7, v34
	v_fmac_f32_e32 v34, 0x3f5db3d7, v55
	ds_write2_b64 v3, v[7:8], v[9:10] offset1:27
	ds_write_b64 v3, v[1:2] offset:1296
	ds_write2_b32 v3, v4, v16 offset0:216 offset1:217
	ds_write2_b32 v54, v15, v17 offset0:122 offset1:123
	ds_write2_b64 v3, v[11:12], v[13:14] offset0:54 offset1:81
	ds_write2_b32 v54, v18, v19 offset0:14 offset1:15
	ds_write2_b32 v54, v21, v34 offset0:176 offset1:177
	s_waitcnt lgkmcnt(0)
	s_barrier
	buffer_gl0_inv
	ds_read2_b64 v[1:4], v53 offset1:27
	ds_read2_b64 v[7:10], v53 offset0:54 offset1:81
	ds_read2_b64 v[11:14], v53 offset0:108 offset1:135
	;; [unrolled: 1-line block ×3, first 2 shown]
	ds_read_b64 v[21:22], v53 offset:1728
	v_add_co_u32 v19, s0, v0, v35
	v_add_co_ci_u32_e64 v20, s0, v6, v36, s0
	v_add_co_u32 v23, s0, v0, v37
	v_add_co_ci_u32_e64 v24, s0, v6, v38, s0
	;; [unrolled: 2-line block ×4, first 2 shown]
	s_waitcnt lgkmcnt(4)
	global_store_dwordx2 v[43:44], v[1:2], off
	global_store_dwordx2 v[45:46], v[3:4], off
	s_waitcnt lgkmcnt(3)
	global_store_dwordx2 v[47:48], v[7:8], off
	global_store_dwordx2 v[49:50], v[9:10], off
	;; [unrolled: 3-line block ×4, first 2 shown]
	s_waitcnt lgkmcnt(0)
	global_store_dwordx2 v[27:28], v[21:22], off
	s_and_saveexec_b32 s0, vcc_lo
	s_cbranch_execz .LBB0_2
; %bb.1:
	ds_read_b64 v[1:2], v5 offset:1944
	s_mul_i32 s6, s4, 0xf3
	s_lshl_b64 s[0:1], s[6:7], 3
	v_add_co_u32 v3, vcc_lo, v0, s0
	v_add_co_ci_u32_e32 v4, vcc_lo, s1, v6, vcc_lo
	s_waitcnt lgkmcnt(0)
	global_store_dwordx2 v[3:4], v[1:2], off
.LBB0_2:
	s_endpgm
	.section	.rodata,"a",@progbits
	.p2align	6, 0x0
	.amdhsa_kernel fft_rtc_fwd_len243_factors_3_3_3_3_3_wgs_216_tpt_27_sp_op_CI_CI_sbrc_erc_z_xy_aligned_dirReg
		.amdhsa_group_segment_fixed_size 0
		.amdhsa_private_segment_fixed_size 0
		.amdhsa_kernarg_size 104
		.amdhsa_user_sgpr_count 6
		.amdhsa_user_sgpr_private_segment_buffer 1
		.amdhsa_user_sgpr_dispatch_ptr 0
		.amdhsa_user_sgpr_queue_ptr 0
		.amdhsa_user_sgpr_kernarg_segment_ptr 1
		.amdhsa_user_sgpr_dispatch_id 0
		.amdhsa_user_sgpr_flat_scratch_init 0
		.amdhsa_user_sgpr_private_segment_size 0
		.amdhsa_wavefront_size32 1
		.amdhsa_uses_dynamic_stack 0
		.amdhsa_system_sgpr_private_segment_wavefront_offset 0
		.amdhsa_system_sgpr_workgroup_id_x 1
		.amdhsa_system_sgpr_workgroup_id_y 0
		.amdhsa_system_sgpr_workgroup_id_z 0
		.amdhsa_system_sgpr_workgroup_info 0
		.amdhsa_system_vgpr_workitem_id 0
		.amdhsa_next_free_vgpr 61
		.amdhsa_next_free_sgpr 30
		.amdhsa_reserve_vcc 1
		.amdhsa_reserve_flat_scratch 0
		.amdhsa_float_round_mode_32 0
		.amdhsa_float_round_mode_16_64 0
		.amdhsa_float_denorm_mode_32 3
		.amdhsa_float_denorm_mode_16_64 3
		.amdhsa_dx10_clamp 1
		.amdhsa_ieee_mode 1
		.amdhsa_fp16_overflow 0
		.amdhsa_workgroup_processor_mode 1
		.amdhsa_memory_ordered 1
		.amdhsa_forward_progress 0
		.amdhsa_shared_vgpr_count 0
		.amdhsa_exception_fp_ieee_invalid_op 0
		.amdhsa_exception_fp_denorm_src 0
		.amdhsa_exception_fp_ieee_div_zero 0
		.amdhsa_exception_fp_ieee_overflow 0
		.amdhsa_exception_fp_ieee_underflow 0
		.amdhsa_exception_fp_ieee_inexact 0
		.amdhsa_exception_int_div_zero 0
	.end_amdhsa_kernel
	.text
.Lfunc_end0:
	.size	fft_rtc_fwd_len243_factors_3_3_3_3_3_wgs_216_tpt_27_sp_op_CI_CI_sbrc_erc_z_xy_aligned_dirReg, .Lfunc_end0-fft_rtc_fwd_len243_factors_3_3_3_3_3_wgs_216_tpt_27_sp_op_CI_CI_sbrc_erc_z_xy_aligned_dirReg
                                        ; -- End function
	.section	.AMDGPU.csdata,"",@progbits
; Kernel info:
; codeLenInByte = 5536
; NumSgprs: 32
; NumVgprs: 61
; ScratchSize: 0
; MemoryBound: 0
; FloatMode: 240
; IeeeMode: 1
; LDSByteSize: 0 bytes/workgroup (compile time only)
; SGPRBlocks: 3
; VGPRBlocks: 7
; NumSGPRsForWavesPerEU: 32
; NumVGPRsForWavesPerEU: 61
; Occupancy: 16
; WaveLimiterHint : 1
; COMPUTE_PGM_RSRC2:SCRATCH_EN: 0
; COMPUTE_PGM_RSRC2:USER_SGPR: 6
; COMPUTE_PGM_RSRC2:TRAP_HANDLER: 0
; COMPUTE_PGM_RSRC2:TGID_X_EN: 1
; COMPUTE_PGM_RSRC2:TGID_Y_EN: 0
; COMPUTE_PGM_RSRC2:TGID_Z_EN: 0
; COMPUTE_PGM_RSRC2:TIDIG_COMP_CNT: 0
	.text
	.p2alignl 6, 3214868480
	.fill 48, 4, 3214868480
	.type	__hip_cuid_4fed8a0ef2d3c6a,@object ; @__hip_cuid_4fed8a0ef2d3c6a
	.section	.bss,"aw",@nobits
	.globl	__hip_cuid_4fed8a0ef2d3c6a
__hip_cuid_4fed8a0ef2d3c6a:
	.byte	0                               ; 0x0
	.size	__hip_cuid_4fed8a0ef2d3c6a, 1

	.ident	"AMD clang version 19.0.0git (https://github.com/RadeonOpenCompute/llvm-project roc-6.4.0 25133 c7fe45cf4b819c5991fe208aaa96edf142730f1d)"
	.section	".note.GNU-stack","",@progbits
	.addrsig
	.addrsig_sym __hip_cuid_4fed8a0ef2d3c6a
	.amdgpu_metadata
---
amdhsa.kernels:
  - .args:
      - .actual_access:  read_only
        .address_space:  global
        .offset:         0
        .size:           8
        .value_kind:     global_buffer
      - .offset:         8
        .size:           8
        .value_kind:     by_value
      - .actual_access:  read_only
        .address_space:  global
        .offset:         16
        .size:           8
        .value_kind:     global_buffer
      - .actual_access:  read_only
        .address_space:  global
        .offset:         24
        .size:           8
        .value_kind:     global_buffer
      - .actual_access:  read_only
        .address_space:  global
        .offset:         32
        .size:           8
        .value_kind:     global_buffer
      - .offset:         40
        .size:           8
        .value_kind:     by_value
      - .actual_access:  read_only
        .address_space:  global
        .offset:         48
        .size:           8
        .value_kind:     global_buffer
      - .actual_access:  read_only
        .address_space:  global
        .offset:         56
        .size:           8
        .value_kind:     global_buffer
      - .offset:         64
        .size:           4
        .value_kind:     by_value
      - .actual_access:  read_only
        .address_space:  global
        .offset:         72
        .size:           8
        .value_kind:     global_buffer
      - .actual_access:  read_only
        .address_space:  global
        .offset:         80
        .size:           8
        .value_kind:     global_buffer
      - .actual_access:  read_only
        .address_space:  global
        .offset:         88
        .size:           8
        .value_kind:     global_buffer
      - .actual_access:  write_only
        .address_space:  global
        .offset:         96
        .size:           8
        .value_kind:     global_buffer
    .group_segment_fixed_size: 0
    .kernarg_segment_align: 8
    .kernarg_segment_size: 104
    .language:       OpenCL C
    .language_version:
      - 2
      - 0
    .max_flat_workgroup_size: 216
    .name:           fft_rtc_fwd_len243_factors_3_3_3_3_3_wgs_216_tpt_27_sp_op_CI_CI_sbrc_erc_z_xy_aligned_dirReg
    .private_segment_fixed_size: 0
    .sgpr_count:     32
    .sgpr_spill_count: 0
    .symbol:         fft_rtc_fwd_len243_factors_3_3_3_3_3_wgs_216_tpt_27_sp_op_CI_CI_sbrc_erc_z_xy_aligned_dirReg.kd
    .uniform_work_group_size: 1
    .uses_dynamic_stack: false
    .vgpr_count:     61
    .vgpr_spill_count: 0
    .wavefront_size: 32
    .workgroup_processor_mode: 1
amdhsa.target:   amdgcn-amd-amdhsa--gfx1030
amdhsa.version:
  - 1
  - 2
...

	.end_amdgpu_metadata
